;; amdgpu-corpus repo=ROCm/bitsandbytes kind=harvested arch=n/a opt=n/a
	.text
	.amdgcn_target "amdgcn-amd-amdhsa--gfx1100"
	.amdhsa_code_object_version 6
	.protected	_Z27kspmm_coo_very_sparse_naiveI6__halfLi16ELi16EEvPiS1_S1_S1_S1_PS0_PT_S2_Pfiiii ; -- Begin function _Z27kspmm_coo_very_sparse_naiveI6__halfLi16ELi16EEvPiS1_S1_S1_S1_PS0_PT_S2_Pfiiii
	.globl	_Z27kspmm_coo_very_sparse_naiveI6__halfLi16ELi16EEvPiS1_S1_S1_S1_PS0_PT_S2_Pfiiii
	.p2align	8
	.type	_Z27kspmm_coo_very_sparse_naiveI6__halfLi16ELi16EEvPiS1_S1_S1_S1_PS0_PT_S2_Pfiiii,@function
_Z27kspmm_coo_very_sparse_naiveI6__halfLi16ELi16EEvPiS1_S1_S1_S1_PS0_PT_S2_Pfiiii: ; @_Z27kspmm_coo_very_sparse_naiveI6__halfLi16ELi16EEvPiS1_S1_S1_S1_PS0_PT_S2_Pfiiii
; %bb.0:
	s_mov_b32 s6, s15
	s_load_b512 s[8:23], s[0:1], 0x0
	s_mov_b32 s7, 0
	s_delay_alu instid0(SALU_CYCLE_1)
	s_lshl_b64 s[2:3], s[6:7], 2
	s_waitcnt lgkmcnt(0)
	s_add_u32 s8, s8, s2
	s_addc_u32 s9, s9, s3
	s_add_u32 s2, s10, s2
	s_addc_u32 s3, s11, s3
	s_load_b32 s4, s[2:3], 0x0
	s_load_b32 s24, s[8:9], 0x0
	s_mov_b32 s2, 0
	s_waitcnt lgkmcnt(0)
	s_cmp_eq_u32 s4, 0
	s_cbranch_scc1 .LBB32_2
; %bb.1:
	s_ashr_i32 s5, s4, 31
	s_delay_alu instid0(SALU_CYCLE_1) | instskip(NEXT) | instid1(SALU_CYCLE_1)
	s_lshl_b64 s[2:3], s[4:5], 2
	s_add_u32 s2, s12, s2
	s_addc_u32 s3, s13, s3
	s_add_u32 s2, s2, -4
	s_addc_u32 s3, s3, -1
	s_load_b32 s2, s[2:3], 0x0
.LBB32_2:
	s_waitcnt lgkmcnt(0)
	s_ashr_i32 s3, s2, 31
	v_dual_mov_b32 v1, 0 :: v_dual_mov_b32 v2, 0
	s_lshl_b64 s[4:5], s[2:3], 2
	s_delay_alu instid0(SALU_CYCLE_1)
	s_add_u32 s8, s14, s4
	s_addc_u32 s9, s15, s5
	s_cmp_lt_i32 s24, 1
	s_cselect_b32 s25, -1, 0
	s_cmp_gt_i32 s24, 0
	s_cbranch_scc0 .LBB32_4
; %bb.3:
	s_lshl_b64 s[6:7], s[2:3], 1
	v_mov_b32_e32 v2, 0
	s_add_u32 s6, s18, s6
	s_addc_u32 s7, s19, s7
	global_load_u16 v2, v2, s[6:7]
	s_add_u32 s6, s16, s4
	s_addc_u32 s7, s17, s5
	s_load_b32 s7, s[6:7], 0x0
.LBB32_4:
	s_load_b32 s6, s[8:9], 0x0
	s_waitcnt lgkmcnt(0)
	v_mov_b32_e32 v3, s7
	s_mov_b32 s7, 0
	s_cmp_lt_i32 s24, 2
	s_mov_b32 s8, 0
	s_waitcnt vmcnt(0)
	s_clause 0x1
	scratch_store_b16 off, v2, off
	scratch_store_b32 off, v3, off offset:64
	s_cbranch_scc1 .LBB32_6
; %bb.5:
	s_lshl_b64 s[8:9], s[2:3], 1
	v_mov_b32_e32 v1, 0
	s_add_u32 s8, s18, s8
	s_addc_u32 s9, s19, s9
	global_load_u16 v1, v1, s[8:9] offset:2
	s_add_u32 s8, s16, s4
	s_addc_u32 s9, s17, s5
	s_load_b32 s8, s[8:9], 0x4
.LBB32_6:
	s_waitcnt lgkmcnt(0)
	v_dual_mov_b32 v4, s8 :: v_dual_mov_b32 v3, 0
	v_mov_b32_e32 v2, 0
	s_cmp_lt_i32 s24, 3
	s_waitcnt vmcnt(0)
	s_clause 0x1
	scratch_store_b16 off, v1, off offset:2
	scratch_store_b32 off, v4, off offset:68
	s_cbranch_scc1 .LBB32_8
; %bb.7:
	s_lshl_b64 s[8:9], s[2:3], 1
	v_mov_b32_e32 v1, 0
	s_add_u32 s8, s18, s8
	s_addc_u32 s9, s19, s9
	global_load_u16 v3, v1, s[8:9] offset:4
	s_add_u32 s8, s16, s4
	s_addc_u32 s9, s17, s5
	s_load_b32 s7, s[8:9], 0x8
.LBB32_8:
	s_waitcnt lgkmcnt(0)
	v_mov_b32_e32 v1, s7
	s_mov_b32 s7, 0
	s_cmp_lt_i32 s24, 4
	s_mov_b32 s8, 0
	s_waitcnt vmcnt(0)
	s_clause 0x1
	scratch_store_b16 off, v3, off offset:4
	scratch_store_b32 off, v1, off offset:72
	s_cbranch_scc1 .LBB32_10
; %bb.9:
	s_lshl_b64 s[8:9], s[2:3], 1
	v_mov_b32_e32 v1, 0
	s_add_u32 s8, s18, s8
	s_addc_u32 s9, s19, s9
	global_load_u16 v2, v1, s[8:9] offset:6
	s_add_u32 s8, s16, s4
	s_addc_u32 s9, s17, s5
	s_load_b32 s8, s[8:9], 0xc
.LBB32_10:
	s_waitcnt lgkmcnt(0)
	v_dual_mov_b32 v4, s8 :: v_dual_mov_b32 v1, 0
	v_mov_b32_e32 v3, 0
	s_cmp_lt_i32 s24, 5
	s_waitcnt vmcnt(0)
	s_clause 0x1
	scratch_store_b16 off, v2, off offset:6
	scratch_store_b32 off, v4, off offset:76
	s_cbranch_scc1 .LBB32_12
; %bb.11:
	s_lshl_b64 s[8:9], s[2:3], 1
	v_mov_b32_e32 v2, 0
	s_add_u32 s8, s18, s8
	s_addc_u32 s9, s19, s9
	global_load_u16 v3, v2, s[8:9] offset:8
	s_add_u32 s8, s16, s4
	s_addc_u32 s9, s17, s5
	s_load_b32 s7, s[8:9], 0x10
.LBB32_12:
	s_waitcnt lgkmcnt(0)
	v_mov_b32_e32 v2, s7
	s_mov_b32 s7, 0
	s_cmp_lt_i32 s24, 6
	s_mov_b32 s8, 0
	s_waitcnt vmcnt(0)
	s_clause 0x1
	scratch_store_b16 off, v3, off offset:8
	;; [unrolled: 39-line block ×14, first 2 shown]
	scratch_store_b32 off, v2, off offset:176
	s_cbranch_scc1 .LBB32_62
; %bb.61:
	s_lshl_b64 s[8:9], s[2:3], 1
	v_mov_b32_e32 v1, 0
	s_add_u32 s8, s18, s8
	s_addc_u32 s9, s19, s9
	global_load_u16 v3, v1, s[8:9] offset:58
	s_add_u32 s8, s16, s4
	s_addc_u32 s9, s17, s5
	s_load_b32 s8, s[8:9], 0x74
.LBB32_62:
	s_waitcnt lgkmcnt(0)
	v_dual_mov_b32 v4, s8 :: v_dual_mov_b32 v1, 0
	v_mov_b32_e32 v2, 0
	s_cmp_lt_i32 s24, 31
	s_waitcnt vmcnt(0)
	s_clause 0x1
	scratch_store_b16 off, v3, off offset:58
	scratch_store_b32 off, v4, off offset:180
	s_cbranch_scc1 .LBB32_64
; %bb.63:
	s_lshl_b64 s[8:9], s[2:3], 1
	v_mov_b32_e32 v2, 0
	s_add_u32 s8, s18, s8
	s_addc_u32 s9, s19, s9
	global_load_u16 v2, v2, s[8:9] offset:60
	s_add_u32 s8, s16, s4
	s_addc_u32 s9, s17, s5
	s_load_b32 s7, s[8:9], 0x78
.LBB32_64:
	s_waitcnt lgkmcnt(0)
	v_mov_b32_e32 v3, s7
	s_cmp_lt_i32 s24, 32
	s_mov_b32 s7, 0
	s_waitcnt vmcnt(0)
	s_clause 0x1
	scratch_store_b16 off, v2, off offset:60
	scratch_store_b32 off, v3, off offset:184
	s_cbranch_scc1 .LBB32_66
; %bb.65:
	s_lshl_b64 s[2:3], s[2:3], 1
	v_mov_b32_e32 v1, 0
	s_add_u32 s2, s18, s2
	s_addc_u32 s3, s19, s3
	global_load_u16 v1, v1, s[2:3] offset:62
	s_add_u32 s2, s16, s4
	s_addc_u32 s3, s17, s5
	s_load_b32 s7, s[2:3], 0x7c
.LBB32_66:
	s_load_b32 s18, s[0:1], 0x54
	s_waitcnt lgkmcnt(0)
	v_dual_mov_b32 v3, s7 :: v_dual_lshlrev_b32 v2, 4, v0
	s_mov_b32 s2, exec_lo
	s_waitcnt vmcnt(0)
	s_clause 0x1
	scratch_store_b16 off, v1, off offset:62
	scratch_store_b32 off, v3, off offset:188
	v_and_b32_e32 v15, 0x3e00, v2
	s_delay_alu instid0(VALU_DEP_1)
	v_cmpx_gt_i32_e64 s18, v15
	s_cbranch_execz .LBB32_165
; %bb.67:
	s_clause 0x1
	s_load_b64 s[2:3], s[0:1], 0x40
	s_load_b32 s0, s[0:1], 0x64
	s_mul_i32 s19, s6, s18
	v_add_lshl_u32 v1, v0, v15, 2
	v_and_b32_e32 v16, 0x1f0, v2
	v_dual_mov_b32 v18, v15 :: v_dual_lshlrev_b32 v17, 1, v0
	s_mov_b32 s26, 0
	s_waitcnt lgkmcnt(0)
	s_cmp_lg_u64 s[2:3], 0
	v_add_co_u32 v9, s1, s2, v1
	s_cselect_b32 s27, -1, 0
	s_and_b32 s28, s0, 0xffff
	v_add_co_ci_u32_e64 v10, null, s3, 0, s1
	s_lshl_b32 s29, s28, 4
	s_add_u32 s30, s22, 2
	s_addc_u32 s31, s23, 0
	s_add_u32 s33, s22, 4
	s_addc_u32 s34, s23, 0
	;; [unrolled: 2-line block ×15, first 2 shown]
	s_ashr_i32 s61, s19, 31
	s_add_u32 s62, s22, 16
	s_addc_u32 s63, s23, 0
	s_add_u32 s64, s22, 18
	s_addc_u32 s65, s23, 0
	;; [unrolled: 2-line block ×8, first 2 shown]
	s_lshl_b32 s78, s28, 1
	s_lshl_b32 s79, s28, 2
	s_branch .LBB32_69
.LBB32_68:                              ;   in Loop: Header=BB32_69 Depth=1
	s_or_b32 exec_lo, exec_lo, s0
	v_add_nc_u32_e32 v18, s29, v18
	s_delay_alu instid0(VALU_DEP_1) | instskip(SKIP_1) | instid1(SALU_CYCLE_1)
	v_cmp_le_i32_e32 vcc_lo, s18, v18
	s_or_b32 s26, vcc_lo, s26
	s_and_not1_b32 exec_lo, exec_lo, s26
	s_cbranch_execz .LBB32_165
.LBB32_69:                              ; =>This Loop Header: Depth=1
                                        ;     Child Loop BB32_72 Depth 2
                                        ;     Child Loop BB32_83 Depth 2
	s_and_not1_b32 vcc_lo, exec_lo, s27
	s_cbranch_vccnz .LBB32_75
; %bb.70:                               ;   in Loop: Header=BB32_69 Depth=1
	v_dual_mov_b32 v1, v9 :: v_dual_mov_b32 v2, v10
	v_dual_mov_b32 v3, v17 :: v_dual_mov_b32 v4, v0
	s_mov_b32 s1, 0
	s_branch .LBB32_72
	.p2align	6
.LBB32_71:                              ;   in Loop: Header=BB32_72 Depth=2
	s_or_b32 exec_lo, exec_lo, s0
	v_add_nc_u32_e32 v4, s28, v4
	v_add_co_u32 v1, s0, v1, s79
	v_add_nc_u32_e32 v3, s78, v3
	v_add_co_ci_u32_e64 v2, s0, 0, v2, s0
	s_delay_alu instid0(VALU_DEP_4) | instskip(SKIP_1) | instid1(SALU_CYCLE_1)
	v_cmp_lt_u32_e32 vcc_lo, 0x7ff, v4
	s_or_b32 s1, vcc_lo, s1
	s_and_not1_b32 exec_lo, exec_lo, s1
	s_cbranch_execz .LBB32_74
.LBB32_72:                              ;   Parent Loop BB32_69 Depth=1
                                        ; =>  This Inner Loop Header: Depth=2
	s_delay_alu instid0(VALU_DEP_1) | instskip(SKIP_1) | instid1(VALU_DEP_1)
	v_add_nc_u32_e32 v5, v15, v4
	s_mov_b32 s0, exec_lo
	v_cmpx_gt_i32_e64 s18, v5
	s_cbranch_execz .LBB32_71
; %bb.73:                               ;   in Loop: Header=BB32_72 Depth=2
	global_load_b32 v5, v[1:2], off
	s_waitcnt vmcnt(0)
	v_cvt_f16_f32_e32 v5, v5
	ds_store_b16 v3, v5
	s_branch .LBB32_71
.LBB32_74:                              ;   in Loop: Header=BB32_69 Depth=1
	s_or_b32 exec_lo, exec_lo, s1
	s_waitcnt lgkmcnt(0)
	s_waitcnt_vscnt null, 0x0
	s_barrier
	buffer_gl0_inv
.LBB32_75:                              ;   in Loop: Header=BB32_69 Depth=1
	v_add_nc_u32_e32 v19, v18, v16
	s_and_not1_b32 vcc_lo, exec_lo, s25
	s_cbranch_vccnz .LBB32_77
; %bb.76:                               ;   in Loop: Header=BB32_69 Depth=1
	s_delay_alu instid0(VALU_DEP_1)
	v_or_b32_e32 v26, 8, v19
	s_mov_b32 s1, 0
	s_mov_b32 s0, 0
	s_branch .LBB32_78
.LBB32_77:                              ;   in Loop: Header=BB32_69 Depth=1
	s_mov_b32 s1, -1
                                        ; implicit-def: $sgpr0
                                        ; implicit-def: $vgpr26
.LBB32_78:                              ;   in Loop: Header=BB32_69 Depth=1
	s_delay_alu instid0(VALU_DEP_1) | instskip(SKIP_1) | instid1(VALU_DEP_1)
	v_dual_mov_b32 v37, s0 :: v_dual_add_nc_u32 v28, 16, v19
	s_and_not1_b32 vcc_lo, exec_lo, s1
	v_cmp_le_i32_e64 s0, s18, v28
	s_delay_alu instid0(VALU_DEP_2)
	v_mov_b32_e32 v36, v37
	v_mov_b32_e32 v35, v37
	;; [unrolled: 1-line block ×15, first 2 shown]
	s_cbranch_vccnz .LBB32_125
; %bb.79:                               ;   in Loop: Header=BB32_69 Depth=1
	v_or_b32_e32 v1, 1, v19
	v_or_b32_e32 v2, 2, v19
	;; [unrolled: 1-line block ×5, first 2 shown]
	v_cmp_gt_i32_e64 s3, s18, v1
	v_cmp_gt_i32_e64 s4, s18, v2
	;; [unrolled: 1-line block ×4, first 2 shown]
	v_or_b32_e32 v1, 5, v19
	v_or_b32_e32 v2, 6, v19
	;; [unrolled: 1-line block ×5, first 2 shown]
	v_cmp_gt_i32_e64 s7, s18, v1
	v_cmp_gt_i32_e64 s8, s18, v2
	;; [unrolled: 1-line block ×5, first 2 shown]
	v_or_b32_e32 v1, 11, v19
	v_or_b32_e32 v2, 12, v19
	;; [unrolled: 1-line block ×5, first 2 shown]
	v_cmp_gt_i32_e32 vcc_lo, s18, v19
	v_cmp_gt_i32_e64 s1, s18, v26
	v_cmp_le_i32_e64 s2, s18, v26
	v_cmp_gt_i32_e64 s12, s18, v1
	v_cmp_gt_i32_e64 s13, s18, v2
	;; [unrolled: 1-line block ×5, first 2 shown]
	v_ashrrev_i32_e32 v38, 31, v19
	v_dual_mov_b32 v39, 64 :: v_dual_mov_b32 v40, 0
	v_dual_mov_b32 v20, 0 :: v_dual_mov_b32 v21, 0
	;; [unrolled: 1-line block ×8, first 2 shown]
	v_mov_b32_e32 v35, 0
	v_mov_b32_e32 v37, 0
	s_mov_b32 s80, s24
	s_branch .LBB32_83
.LBB32_80:                              ;   in Loop: Header=BB32_83 Depth=2
	s_or_b32 exec_lo, exec_lo, s17
	s_waitcnt vmcnt(0)
	v_cvt_f32_f16_e32 v11, v45
	s_delay_alu instid0(VALU_DEP_1)
	v_fma_mixlo_f16 v29, v5, v11, v29 op_sel_hi:[1,0,1]
	v_fma_mixlo_f16 v27, v46, v11, v27 op_sel_hi:[1,0,1]
	;; [unrolled: 1-line block ×8, first 2 shown]
.LBB32_81:                              ;   in Loop: Header=BB32_83 Depth=2
	s_or_b32 exec_lo, exec_lo, s82
	s_waitcnt vmcnt(0)
	v_fma_mixlo_f16 v37, v1, v45, v37 op_sel_hi:[1,1,1]
	v_fma_mixlo_f16 v36, v41, v45, v36 op_sel_hi:[1,1,1]
	v_fma_mixlo_f16 v35, v2, v45, v35 op_sel_hi:[1,1,1]
	v_fma_mixlo_f16 v34, v42, v45, v34 op_sel_hi:[1,1,1]
	v_fma_mixlo_f16 v33, v3, v45, v33 op_sel_hi:[1,1,1]
	v_fma_mixlo_f16 v32, v43, v45, v32 op_sel_hi:[1,1,1]
	v_fma_mixlo_f16 v31, v4, v45, v31 op_sel_hi:[1,1,1]
	v_fma_mixlo_f16 v30, v44, v45, v30 op_sel_hi:[1,1,1]
.LBB32_82:                              ;   in Loop: Header=BB32_83 Depth=2
	s_or_b32 exec_lo, exec_lo, s81
	v_add_nc_u32_e32 v39, 4, v39
	v_add_nc_u32_e32 v40, 2, v40
	s_add_i32 s80, s80, -1
	s_delay_alu instid0(SALU_CYCLE_1)
	s_cmp_eq_u32 s80, 0
	s_cbranch_scc1 .LBB32_125
.LBB32_83:                              ;   Parent Loop BB32_69 Depth=1
                                        ; =>  This Inner Loop Header: Depth=2
	s_and_saveexec_b32 s81, vcc_lo
	s_cbranch_execz .LBB32_82
; %bb.84:                               ;   in Loop: Header=BB32_83 Depth=2
	scratch_load_b32 v1, v39, off
	s_mov_b32 s84, 0
                                        ; implicit-def: $vgpr41
                                        ; implicit-def: $vgpr42
                                        ; implicit-def: $vgpr43
                                        ; implicit-def: $vgpr5_vgpr6
                                        ; implicit-def: $sgpr82
	s_waitcnt vmcnt(0)
	v_mul_lo_u32 v13, v1, s18
                                        ; implicit-def: $vgpr1
	s_delay_alu instid0(VALU_DEP_1) | instskip(SKIP_1) | instid1(SALU_CYCLE_1)
	v_add_nc_u32_e32 v7, v19, v13
	s_and_saveexec_b32 s17, s2
	s_xor_b32 s83, exec_lo, s17
	s_cbranch_execz .LBB32_102
; %bb.85:                               ;   in Loop: Header=BB32_83 Depth=2
	s_delay_alu instid0(VALU_DEP_1) | instskip(SKIP_1) | instid1(VALU_DEP_2)
	v_ashrrev_i32_e32 v8, 31, v7
	v_mov_b32_e32 v41, 0
	v_lshlrev_b64 v[1:2], 1, v[7:8]
	s_delay_alu instid0(VALU_DEP_1) | instskip(NEXT) | instid1(VALU_DEP_1)
	v_add_co_u32 v7, s17, s20, v1
	v_add_co_ci_u32_e64 v8, s17, s21, v2, s17
	v_mov_b32_e32 v2, 0
	global_load_u16 v1, v[7:8], off
	s_and_saveexec_b32 s17, s3
	s_cbranch_execz .LBB32_87
; %bb.86:                               ;   in Loop: Header=BB32_83 Depth=2
	global_load_u16 v41, v[7:8], off offset:2
.LBB32_87:                              ;   in Loop: Header=BB32_83 Depth=2
	s_or_b32 exec_lo, exec_lo, s17
	s_and_saveexec_b32 s17, s4
	s_cbranch_execz .LBB32_89
; %bb.88:                               ;   in Loop: Header=BB32_83 Depth=2
	global_load_u16 v2, v[7:8], off offset:4
.LBB32_89:                              ;   in Loop: Header=BB32_83 Depth=2
	s_or_b32 exec_lo, exec_lo, s17
	v_dual_mov_b32 v3, 0 :: v_dual_mov_b32 v42, 0
	s_and_saveexec_b32 s17, s5
	s_cbranch_execz .LBB32_91
; %bb.90:                               ;   in Loop: Header=BB32_83 Depth=2
	global_load_u16 v42, v[7:8], off offset:6
.LBB32_91:                              ;   in Loop: Header=BB32_83 Depth=2
	s_or_b32 exec_lo, exec_lo, s17
	s_and_saveexec_b32 s17, s6
	s_cbranch_execz .LBB32_93
; %bb.92:                               ;   in Loop: Header=BB32_83 Depth=2
	global_load_u16 v3, v[7:8], off offset:8
.LBB32_93:                              ;   in Loop: Header=BB32_83 Depth=2
	s_or_b32 exec_lo, exec_lo, s17
	v_dual_mov_b32 v4, 0 :: v_dual_mov_b32 v43, 0
	s_and_saveexec_b32 s17, s7
	s_cbranch_execz .LBB32_95
; %bb.94:                               ;   in Loop: Header=BB32_83 Depth=2
	global_load_u16 v43, v[7:8], off offset:10
.LBB32_95:                              ;   in Loop: Header=BB32_83 Depth=2
	s_or_b32 exec_lo, exec_lo, s17
	s_and_saveexec_b32 s17, s8
	s_cbranch_execz .LBB32_97
; %bb.96:                               ;   in Loop: Header=BB32_83 Depth=2
	global_load_u16 v4, v[7:8], off offset:12
.LBB32_97:                              ;   in Loop: Header=BB32_83 Depth=2
	s_or_b32 exec_lo, exec_lo, s17
	s_mov_b32 s82, 0
                                        ; implicit-def: $vgpr5_vgpr6
	s_and_saveexec_b32 s17, s9
	s_delay_alu instid0(SALU_CYCLE_1)
	s_xor_b32 s85, exec_lo, s17
; %bb.98:                               ;   in Loop: Header=BB32_83 Depth=2
	v_add_co_u32 v5, s17, v7, 14
	s_delay_alu instid0(VALU_DEP_1)
	v_add_co_ci_u32_e64 v6, s17, 0, v8, s17
	s_mov_b32 s84, exec_lo
; %bb.99:                               ;   in Loop: Header=BB32_83 Depth=2
	s_or_b32 exec_lo, exec_lo, s85
	s_delay_alu instid0(SALU_CYCLE_1)
	s_and_b32 s84, s84, exec_lo
                                        ; implicit-def: $vgpr7
	s_and_not1_saveexec_b32 s83, s83
	s_cbranch_execnz .LBB32_103
.LBB32_100:                             ;   in Loop: Header=BB32_83 Depth=2
	s_or_b32 exec_lo, exec_lo, s83
	v_mov_b32_e32 v44, s82
	s_and_saveexec_b32 s17, s84
	s_cbranch_execz .LBB32_104
.LBB32_101:                             ;   in Loop: Header=BB32_83 Depth=2
	global_load_u16 v44, v[5:6], off
	s_or_b32 exec_lo, exec_lo, s17
	scratch_load_u16 v45, v40, off
	s_and_saveexec_b32 s82, s1
	s_cbranch_execz .LBB32_81
	s_branch .LBB32_105
.LBB32_102:                             ;   in Loop: Header=BB32_83 Depth=2
	s_and_not1_saveexec_b32 s83, s83
	s_cbranch_execz .LBB32_100
.LBB32_103:                             ;   in Loop: Header=BB32_83 Depth=2
	s_waitcnt vmcnt(0)
	v_ashrrev_i32_e32 v1, 31, v7
	s_or_b32 s84, s84, exec_lo
	s_delay_alu instid0(VALU_DEP_1) | instskip(NEXT) | instid1(VALU_DEP_1)
	v_lshrrev_b32_e32 v1, 29, v1
	v_add_nc_u32_e32 v1, v7, v1
	s_delay_alu instid0(VALU_DEP_1) | instskip(NEXT) | instid1(VALU_DEP_1)
	v_ashrrev_i32_e32 v1, 3, v1
	v_ashrrev_i32_e32 v2, 31, v1
	s_delay_alu instid0(VALU_DEP_1) | instskip(NEXT) | instid1(VALU_DEP_1)
	v_lshlrev_b64 v[1:2], 4, v[1:2]
	v_add_co_u32 v5, s17, s20, v1
	s_delay_alu instid0(VALU_DEP_1) | instskip(SKIP_2) | instid1(VALU_DEP_1)
	v_add_co_ci_u32_e64 v6, s17, s21, v2, s17
	global_load_b128 v[1:4], v[5:6], off
	v_add_co_u32 v5, s17, v5, 14
	v_add_co_ci_u32_e64 v6, s17, 0, v6, s17
	s_waitcnt vmcnt(0)
	v_lshrrev_b32_e32 v41, 16, v1
	v_lshrrev_b32_e32 v42, 16, v2
	;; [unrolled: 1-line block ×3, first 2 shown]
	s_or_b32 exec_lo, exec_lo, s83
	v_mov_b32_e32 v44, s82
	s_and_saveexec_b32 s17, s84
	s_cbranch_execnz .LBB32_101
.LBB32_104:                             ;   in Loop: Header=BB32_83 Depth=2
	s_or_b32 exec_lo, exec_lo, s17
	scratch_load_u16 v45, v40, off
	s_and_saveexec_b32 s82, s1
	s_cbranch_execz .LBB32_81
.LBB32_105:                             ;   in Loop: Header=BB32_83 Depth=2
	s_mov_b32 s85, 0
                                        ; implicit-def: $vgpr5
                                        ; implicit-def: $vgpr46
                                        ; implicit-def: $vgpr47
                                        ; implicit-def: $vgpr48
                                        ; implicit-def: $vgpr11_vgpr12
                                        ; implicit-def: $sgpr84
	s_and_saveexec_b32 s17, s0
	s_delay_alu instid0(SALU_CYCLE_1)
	s_xor_b32 s83, exec_lo, s17
	s_cbranch_execz .LBB32_116
; %bb.106:                              ;   in Loop: Header=BB32_83 Depth=2
	v_ashrrev_i32_e32 v6, 31, v13
	v_add_co_u32 v5, s17, v19, v13
	v_mov_b32_e32 v46, 0
	s_delay_alu instid0(VALU_DEP_3) | instskip(NEXT) | instid1(VALU_DEP_1)
	v_add_co_ci_u32_e64 v6, s17, v38, v6, s17
	v_lshlrev_b64 v[13:14], 1, v[5:6]
	s_delay_alu instid0(VALU_DEP_1) | instskip(NEXT) | instid1(VALU_DEP_1)
	v_add_co_u32 v5, s17, s45, v13
	v_add_co_ci_u32_e64 v6, s17, s46, v14, s17
	global_load_u16 v5, v[5:6], off
	v_mov_b32_e32 v6, 0
	s_and_saveexec_b32 s84, s10
	s_cbranch_execz .LBB32_108
; %bb.107:                              ;   in Loop: Header=BB32_83 Depth=2
	v_add_co_u32 v7, s17, s47, v13
	s_delay_alu instid0(VALU_DEP_1)
	v_add_co_ci_u32_e64 v8, s17, s48, v14, s17
	global_load_u16 v46, v[7:8], off
.LBB32_108:                             ;   in Loop: Header=BB32_83 Depth=2
	s_or_b32 exec_lo, exec_lo, s84
	s_and_saveexec_b32 s84, s11
	s_cbranch_execz .LBB32_110
; %bb.109:                              ;   in Loop: Header=BB32_83 Depth=2
	v_add_co_u32 v6, s17, s49, v13
	s_delay_alu instid0(VALU_DEP_1)
	v_add_co_ci_u32_e64 v7, s17, s50, v14, s17
	global_load_u16 v6, v[6:7], off
.LBB32_110:                             ;   in Loop: Header=BB32_83 Depth=2
	s_or_b32 exec_lo, exec_lo, s84
	v_mov_b32_e32 v7, 0
	v_mov_b32_e32 v47, 0
	s_and_saveexec_b32 s84, s12
	s_cbranch_execz .LBB32_112
; %bb.111:                              ;   in Loop: Header=BB32_83 Depth=2
	v_add_co_u32 v11, s17, s51, v13
	s_delay_alu instid0(VALU_DEP_1)
	v_add_co_ci_u32_e64 v12, s17, s52, v14, s17
	global_load_u16 v47, v[11:12], off
.LBB32_112:                             ;   in Loop: Header=BB32_83 Depth=2
	s_or_b32 exec_lo, exec_lo, s84
	s_and_saveexec_b32 s84, s13
	s_cbranch_execz .LBB32_114
; %bb.113:                              ;   in Loop: Header=BB32_83 Depth=2
	v_add_co_u32 v7, s17, s53, v13
	s_delay_alu instid0(VALU_DEP_1)
	v_add_co_ci_u32_e64 v8, s17, s54, v14, s17
	global_load_u16 v7, v[7:8], off
.LBB32_114:                             ;   in Loop: Header=BB32_83 Depth=2
	s_or_b32 exec_lo, exec_lo, s84
	v_mov_b32_e32 v8, 0
	v_mov_b32_e32 v48, 0
	s_and_saveexec_b32 s84, s14
	s_cbranch_execz .LBB32_118
; %bb.115:                              ;   in Loop: Header=BB32_83 Depth=2
	v_add_co_u32 v11, s17, s55, v13
	s_delay_alu instid0(VALU_DEP_1)
	v_add_co_ci_u32_e64 v12, s17, s56, v14, s17
	global_load_u16 v48, v[11:12], off
	s_or_b32 exec_lo, exec_lo, s84
	s_and_saveexec_b32 s84, s15
	s_cbranch_execz .LBB32_120
	s_branch .LBB32_119
.LBB32_116:                             ;   in Loop: Header=BB32_83 Depth=2
	s_and_not1_saveexec_b32 s83, s83
	s_cbranch_execz .LBB32_123
.LBB32_117:                             ;   in Loop: Header=BB32_83 Depth=2
	s_waitcnt vmcnt(0)
	v_add_nc_u32_e32 v5, v26, v13
	s_or_b32 s85, s85, exec_lo
	s_delay_alu instid0(VALU_DEP_1) | instskip(NEXT) | instid1(VALU_DEP_1)
	v_ashrrev_i32_e32 v6, 31, v5
	v_lshrrev_b32_e32 v6, 29, v6
	s_delay_alu instid0(VALU_DEP_1) | instskip(NEXT) | instid1(VALU_DEP_1)
	v_add_nc_u32_e32 v5, v5, v6
	v_ashrrev_i32_e32 v5, 3, v5
	s_delay_alu instid0(VALU_DEP_1) | instskip(NEXT) | instid1(VALU_DEP_1)
	v_ashrrev_i32_e32 v6, 31, v5
	v_lshlrev_b64 v[5:6], 4, v[5:6]
	s_delay_alu instid0(VALU_DEP_1) | instskip(NEXT) | instid1(VALU_DEP_1)
	v_add_co_u32 v11, s17, s20, v5
	v_add_co_ci_u32_e64 v12, s17, s21, v6, s17
	global_load_b128 v[5:8], v[11:12], off
	v_add_co_u32 v11, s17, v11, 14
	s_delay_alu instid0(VALU_DEP_1)
	v_add_co_ci_u32_e64 v12, s17, 0, v12, s17
	s_waitcnt vmcnt(0)
	v_lshrrev_b32_e32 v46, 16, v5
	v_lshrrev_b32_e32 v47, 16, v6
	;; [unrolled: 1-line block ×3, first 2 shown]
	s_or_b32 exec_lo, exec_lo, s83
	v_mov_b32_e32 v13, s84
	s_and_saveexec_b32 s17, s85
	s_cbranch_execz .LBB32_80
	s_branch .LBB32_124
.LBB32_118:                             ;   in Loop: Header=BB32_83 Depth=2
	s_or_b32 exec_lo, exec_lo, s84
	s_and_saveexec_b32 s84, s15
	s_cbranch_execz .LBB32_120
.LBB32_119:                             ;   in Loop: Header=BB32_83 Depth=2
	v_add_co_u32 v11, s17, s57, v13
	s_delay_alu instid0(VALU_DEP_1)
	v_add_co_ci_u32_e64 v12, s17, s58, v14, s17
	global_load_u16 v8, v[11:12], off
.LBB32_120:                             ;   in Loop: Header=BB32_83 Depth=2
	s_or_b32 exec_lo, exec_lo, s84
	s_mov_b32 s84, 0
                                        ; implicit-def: $vgpr11_vgpr12
	s_and_saveexec_b32 s86, s16
; %bb.121:                              ;   in Loop: Header=BB32_83 Depth=2
	v_add_co_u32 v11, s17, s59, v13
	s_delay_alu instid0(VALU_DEP_1)
	v_add_co_ci_u32_e64 v12, s17, s60, v14, s17
	s_mov_b32 s85, exec_lo
; %bb.122:                              ;   in Loop: Header=BB32_83 Depth=2
	s_or_b32 exec_lo, exec_lo, s86
	s_delay_alu instid0(SALU_CYCLE_1)
	s_and_b32 s85, s85, exec_lo
                                        ; implicit-def: $vgpr13
	s_and_not1_saveexec_b32 s83, s83
	s_cbranch_execnz .LBB32_117
.LBB32_123:                             ;   in Loop: Header=BB32_83 Depth=2
	s_or_b32 exec_lo, exec_lo, s83
	v_mov_b32_e32 v13, s84
	s_and_saveexec_b32 s17, s85
	s_cbranch_execz .LBB32_80
.LBB32_124:                             ;   in Loop: Header=BB32_83 Depth=2
	global_load_u16 v13, v[11:12], off
	s_branch .LBB32_80
.LBB32_125:                             ;   in Loop: Header=BB32_69 Depth=1
	v_add_nc_u32_e32 v1, s19, v19
	v_cmp_gt_i32_e32 vcc_lo, s18, v26
	s_mov_b32 s1, exec_lo
	v_cmpx_le_i32_e64 s18, v26
	s_xor_b32 s1, exec_lo, s1
	s_cbranch_execz .LBB32_143
; %bb.126:                              ;   in Loop: Header=BB32_69 Depth=1
	s_mov_b32 s2, exec_lo
	v_cmpx_gt_i32_e64 s18, v19
	s_cbranch_execz .LBB32_128
; %bb.127:                              ;   in Loop: Header=BB32_69 Depth=1
	v_ashrrev_i32_e32 v2, 31, v1
	s_delay_alu instid0(VALU_DEP_1) | instskip(NEXT) | instid1(VALU_DEP_1)
	v_lshlrev_b64 v[2:3], 1, v[1:2]
	v_add_co_u32 v2, s0, s22, v2
	s_delay_alu instid0(VALU_DEP_1)
	v_add_co_ci_u32_e64 v3, s0, s23, v3, s0
	global_load_u16 v4, v[2:3], off
	s_waitcnt vmcnt(0)
	v_add_f16_e32 v4, v4, v37
	global_store_b16 v[2:3], v4, off
.LBB32_128:                             ;   in Loop: Header=BB32_69 Depth=1
	s_or_b32 exec_lo, exec_lo, s2
	v_or_b32_e32 v2, 1, v19
	s_mov_b32 s2, exec_lo
	s_delay_alu instid0(VALU_DEP_1)
	v_cmpx_gt_i32_e64 s18, v2
	s_cbranch_execz .LBB32_130
; %bb.129:                              ;   in Loop: Header=BB32_69 Depth=1
	v_ashrrev_i32_e32 v2, 31, v1
	s_delay_alu instid0(VALU_DEP_1) | instskip(NEXT) | instid1(VALU_DEP_1)
	v_lshlrev_b64 v[2:3], 1, v[1:2]
	v_add_co_u32 v2, s0, s30, v2
	s_delay_alu instid0(VALU_DEP_1)
	v_add_co_ci_u32_e64 v3, s0, s31, v3, s0
	global_load_u16 v4, v[2:3], off
	s_waitcnt vmcnt(0)
	v_add_f16_e32 v4, v4, v36
	global_store_b16 v[2:3], v4, off
.LBB32_130:                             ;   in Loop: Header=BB32_69 Depth=1
	s_or_b32 exec_lo, exec_lo, s2
	v_or_b32_e32 v2, 2, v19
	s_mov_b32 s2, exec_lo
	s_delay_alu instid0(VALU_DEP_1)
	;; [unrolled: 18-line block ×7, first 2 shown]
	v_cmpx_gt_i32_e64 s18, v2
	s_cbranch_execz .LBB32_142
; %bb.141:                              ;   in Loop: Header=BB32_69 Depth=1
	v_ashrrev_i32_e32 v2, 31, v1
	s_delay_alu instid0(VALU_DEP_1) | instskip(NEXT) | instid1(VALU_DEP_1)
	v_lshlrev_b64 v[1:2], 1, v[1:2]
	v_add_co_u32 v1, s0, s43, v1
	s_delay_alu instid0(VALU_DEP_1)
	v_add_co_ci_u32_e64 v2, s0, s44, v2, s0
	global_load_u16 v3, v[1:2], off
	s_waitcnt vmcnt(0)
	v_add_f16_e32 v3, v3, v30
	global_store_b16 v[1:2], v3, off
.LBB32_142:                             ;   in Loop: Header=BB32_69 Depth=1
	s_or_b32 exec_lo, exec_lo, s2
                                        ; implicit-def: $vgpr1
                                        ; implicit-def: $vgpr37
                                        ; implicit-def: $vgpr36
                                        ; implicit-def: $vgpr35
                                        ; implicit-def: $vgpr34
                                        ; implicit-def: $vgpr33
                                        ; implicit-def: $vgpr32
                                        ; implicit-def: $vgpr31
                                        ; implicit-def: $vgpr30
.LBB32_143:                             ;   in Loop: Header=BB32_69 Depth=1
	s_and_not1_saveexec_b32 s1, s1
	s_cbranch_execz .LBB32_145
; %bb.144:                              ;   in Loop: Header=BB32_69 Depth=1
	v_ashrrev_i32_e32 v2, 31, v1
	s_delay_alu instid0(VALU_DEP_1) | instskip(NEXT) | instid1(VALU_DEP_1)
	v_lshrrev_b32_e32 v2, 29, v2
	v_add_nc_u32_e32 v1, v1, v2
	s_delay_alu instid0(VALU_DEP_1) | instskip(NEXT) | instid1(VALU_DEP_1)
	v_ashrrev_i32_e32 v1, 3, v1
	v_ashrrev_i32_e32 v2, 31, v1
	s_delay_alu instid0(VALU_DEP_1) | instskip(NEXT) | instid1(VALU_DEP_1)
	v_lshlrev_b64 v[1:2], 4, v[1:2]
	v_add_co_u32 v5, s0, s22, v1
	s_delay_alu instid0(VALU_DEP_1)
	v_add_co_ci_u32_e64 v6, s0, s23, v2, s0
	global_load_b128 v[1:4], v[5:6], off
	s_waitcnt vmcnt(0)
	v_lshrrev_b32_e32 v7, 16, v1
	v_lshrrev_b32_e32 v8, 16, v2
	;; [unrolled: 1-line block ×4, first 2 shown]
	v_add_f16_e32 v1, v37, v1
	v_add_f16_e32 v2, v35, v2
	;; [unrolled: 1-line block ×8, first 2 shown]
	s_delay_alu instid0(VALU_DEP_4) | instskip(NEXT) | instid1(VALU_DEP_4)
	v_pack_b32_f16 v4, v4, v12
	v_pack_b32_f16 v3, v3, v11
	s_delay_alu instid0(VALU_DEP_4) | instskip(NEXT) | instid1(VALU_DEP_4)
	v_pack_b32_f16 v2, v2, v8
	v_pack_b32_f16 v1, v1, v7
	global_store_b128 v[5:6], v[1:4], off
.LBB32_145:                             ;   in Loop: Header=BB32_69 Depth=1
	s_or_b32 exec_lo, exec_lo, s1
	v_cmp_le_i32_e64 s0, s18, v28
	s_delay_alu instid0(VALU_DEP_1) | instskip(NEXT) | instid1(SALU_CYCLE_1)
	s_and_saveexec_b32 s1, s0
	s_xor_b32 s0, exec_lo, s1
	s_cbranch_execz .LBB32_163
; %bb.146:                              ;   in Loop: Header=BB32_69 Depth=1
	s_and_saveexec_b32 s1, vcc_lo
	s_cbranch_execz .LBB32_148
; %bb.147:                              ;   in Loop: Header=BB32_69 Depth=1
	v_ashrrev_i32_e32 v2, 31, v19
	v_add_co_u32 v1, vcc_lo, v19, s19
	s_delay_alu instid0(VALU_DEP_2) | instskip(NEXT) | instid1(VALU_DEP_1)
	v_add_co_ci_u32_e32 v2, vcc_lo, s61, v2, vcc_lo
	v_lshlrev_b64 v[1:2], 1, v[1:2]
	s_delay_alu instid0(VALU_DEP_1) | instskip(NEXT) | instid1(VALU_DEP_2)
	v_add_co_u32 v1, vcc_lo, s62, v1
	v_add_co_ci_u32_e32 v2, vcc_lo, s63, v2, vcc_lo
	global_load_u16 v3, v[1:2], off
	s_waitcnt vmcnt(0)
	v_add_f16_e32 v3, v3, v29
	global_store_b16 v[1:2], v3, off
.LBB32_148:                             ;   in Loop: Header=BB32_69 Depth=1
	s_or_b32 exec_lo, exec_lo, s1
	v_or_b32_e32 v1, 9, v19
	s_mov_b32 s1, exec_lo
	s_delay_alu instid0(VALU_DEP_1)
	v_cmpx_gt_i32_e64 s18, v1
	s_cbranch_execz .LBB32_150
; %bb.149:                              ;   in Loop: Header=BB32_69 Depth=1
	v_ashrrev_i32_e32 v2, 31, v19
	v_add_co_u32 v1, vcc_lo, v19, s19
	s_delay_alu instid0(VALU_DEP_2) | instskip(NEXT) | instid1(VALU_DEP_1)
	v_add_co_ci_u32_e32 v2, vcc_lo, s61, v2, vcc_lo
	v_lshlrev_b64 v[1:2], 1, v[1:2]
	s_delay_alu instid0(VALU_DEP_1) | instskip(NEXT) | instid1(VALU_DEP_2)
	v_add_co_u32 v1, vcc_lo, s64, v1
	v_add_co_ci_u32_e32 v2, vcc_lo, s65, v2, vcc_lo
	global_load_u16 v3, v[1:2], off
	s_waitcnt vmcnt(0)
	v_add_f16_e32 v3, v3, v27
	global_store_b16 v[1:2], v3, off
.LBB32_150:                             ;   in Loop: Header=BB32_69 Depth=1
	s_or_b32 exec_lo, exec_lo, s1
	v_or_b32_e32 v1, 10, v19
	s_mov_b32 s1, exec_lo
	s_delay_alu instid0(VALU_DEP_1)
	v_cmpx_gt_i32_e64 s18, v1
	;; [unrolled: 20-line block ×7, first 2 shown]
	s_cbranch_execz .LBB32_162
; %bb.161:                              ;   in Loop: Header=BB32_69 Depth=1
	v_ashrrev_i32_e32 v2, 31, v19
	v_add_co_u32 v1, vcc_lo, v19, s19
	s_delay_alu instid0(VALU_DEP_2) | instskip(NEXT) | instid1(VALU_DEP_1)
	v_add_co_ci_u32_e32 v2, vcc_lo, s61, v2, vcc_lo
	v_lshlrev_b64 v[1:2], 1, v[1:2]
	s_delay_alu instid0(VALU_DEP_1) | instskip(NEXT) | instid1(VALU_DEP_2)
	v_add_co_u32 v1, vcc_lo, s76, v1
	v_add_co_ci_u32_e32 v2, vcc_lo, s77, v2, vcc_lo
	global_load_u16 v3, v[1:2], off
	s_waitcnt vmcnt(0)
	v_add_f16_e32 v3, v3, v20
	global_store_b16 v[1:2], v3, off
.LBB32_162:                             ;   in Loop: Header=BB32_69 Depth=1
	s_or_b32 exec_lo, exec_lo, s1
                                        ; implicit-def: $vgpr29
                                        ; implicit-def: $vgpr27
                                        ; implicit-def: $vgpr25
                                        ; implicit-def: $vgpr24
                                        ; implicit-def: $vgpr23
                                        ; implicit-def: $vgpr22
                                        ; implicit-def: $vgpr21
                                        ; implicit-def: $vgpr20
                                        ; implicit-def: $vgpr26
.LBB32_163:                             ;   in Loop: Header=BB32_69 Depth=1
	s_and_not1_saveexec_b32 s0, s0
	s_cbranch_execz .LBB32_68
; %bb.164:                              ;   in Loop: Header=BB32_69 Depth=1
	v_add_nc_u32_e32 v1, s19, v26
	v_perm_b32 v4, v20, v21, 0x5040100
	v_perm_b32 v3, v22, v23, 0x5040100
	s_delay_alu instid0(VALU_DEP_3) | instskip(NEXT) | instid1(VALU_DEP_1)
	v_ashrrev_i32_e32 v2, 31, v1
	v_lshrrev_b32_e32 v2, 29, v2
	s_delay_alu instid0(VALU_DEP_1) | instskip(NEXT) | instid1(VALU_DEP_1)
	v_add_nc_u32_e32 v1, v1, v2
	v_ashrrev_i32_e32 v1, 3, v1
	s_delay_alu instid0(VALU_DEP_1) | instskip(NEXT) | instid1(VALU_DEP_1)
	v_ashrrev_i32_e32 v2, 31, v1
	v_lshlrev_b64 v[1:2], 4, v[1:2]
	s_delay_alu instid0(VALU_DEP_1) | instskip(NEXT) | instid1(VALU_DEP_2)
	v_add_co_u32 v5, vcc_lo, s22, v1
	v_add_co_ci_u32_e32 v6, vcc_lo, s23, v2, vcc_lo
	v_perm_b32 v2, v24, v25, 0x5040100
	global_load_u16 v1, v[5:6], off offset:14
	s_waitcnt vmcnt(0)
	v_add_f16_e32 v1, v29, v1
	s_delay_alu instid0(VALU_DEP_1)
	v_perm_b32 v1, v27, v1, 0x5040100
	global_store_b128 v[5:6], v[1:4], off
	s_branch .LBB32_68
.LBB32_165:
	s_endpgm
	.section	.rodata,"a",@progbits
	.p2align	6, 0x0
	.amdhsa_kernel _Z27kspmm_coo_very_sparse_naiveI6__halfLi16ELi16EEvPiS1_S1_S1_S1_PS0_PT_S2_Pfiiii
		.amdhsa_group_segment_fixed_size 4096
		.amdhsa_private_segment_fixed_size 208
		.amdhsa_kernarg_size 344
		.amdhsa_user_sgpr_count 15
		.amdhsa_user_sgpr_dispatch_ptr 0
		.amdhsa_user_sgpr_queue_ptr 0
		.amdhsa_user_sgpr_kernarg_segment_ptr 1
		.amdhsa_user_sgpr_dispatch_id 0
		.amdhsa_user_sgpr_private_segment_size 0
		.amdhsa_wavefront_size32 1
		.amdhsa_uses_dynamic_stack 0
		.amdhsa_enable_private_segment 1
		.amdhsa_system_sgpr_workgroup_id_x 1
		.amdhsa_system_sgpr_workgroup_id_y 0
		.amdhsa_system_sgpr_workgroup_id_z 0
		.amdhsa_system_sgpr_workgroup_info 0
		.amdhsa_system_vgpr_workitem_id 0
		.amdhsa_next_free_vgpr 49
		.amdhsa_next_free_sgpr 87
		.amdhsa_reserve_vcc 1
		.amdhsa_float_round_mode_32 0
		.amdhsa_float_round_mode_16_64 0
		.amdhsa_float_denorm_mode_32 3
		.amdhsa_float_denorm_mode_16_64 3
		.amdhsa_dx10_clamp 1
		.amdhsa_ieee_mode 1
		.amdhsa_fp16_overflow 0
		.amdhsa_workgroup_processor_mode 1
		.amdhsa_memory_ordered 1
		.amdhsa_forward_progress 0
		.amdhsa_shared_vgpr_count 0
		.amdhsa_exception_fp_ieee_invalid_op 0
		.amdhsa_exception_fp_denorm_src 0
		.amdhsa_exception_fp_ieee_div_zero 0
		.amdhsa_exception_fp_ieee_overflow 0
		.amdhsa_exception_fp_ieee_underflow 0
		.amdhsa_exception_fp_ieee_inexact 0
		.amdhsa_exception_int_div_zero 0
	.end_amdhsa_kernel
	.section	.text._Z27kspmm_coo_very_sparse_naiveI6__halfLi16ELi16EEvPiS1_S1_S1_S1_PS0_PT_S2_Pfiiii,"axG",@progbits,_Z27kspmm_coo_very_sparse_naiveI6__halfLi16ELi16EEvPiS1_S1_S1_S1_PS0_PT_S2_Pfiiii,comdat
.Lfunc_end32:
	.size	_Z27kspmm_coo_very_sparse_naiveI6__halfLi16ELi16EEvPiS1_S1_S1_S1_PS0_PT_S2_Pfiiii, .Lfunc_end32-_Z27kspmm_coo_very_sparse_naiveI6__halfLi16ELi16EEvPiS1_S1_S1_S1_PS0_PT_S2_Pfiiii
                                        ; -- End function
	.section	.AMDGPU.csdata,"",@progbits
; Kernel info:
; codeLenInByte = 6984
; NumSgprs: 89
; NumVgprs: 49
; ScratchSize: 208
; MemoryBound: 0
; FloatMode: 240
; IeeeMode: 1
; LDSByteSize: 4096 bytes/workgroup (compile time only)
; SGPRBlocks: 11
; VGPRBlocks: 6
; NumSGPRsForWavesPerEU: 89
; NumVGPRsForWavesPerEU: 49
; Occupancy: 16
; WaveLimiterHint : 1
; COMPUTE_PGM_RSRC2:SCRATCH_EN: 1
; COMPUTE_PGM_RSRC2:USER_SGPR: 15
; COMPUTE_PGM_RSRC2:TRAP_HANDLER: 0
; COMPUTE_PGM_RSRC2:TGID_X_EN: 1
; COMPUTE_PGM_RSRC2:TGID_Y_EN: 0
; COMPUTE_PGM_RSRC2:TGID_Z_EN: 0
; COMPUTE_PGM_RSRC2:TIDIG_COMP_CNT: 0
	.section	.text._Z27kspmm_coo_very_sparse_naiveI6__halfLi32ELi16EEvPiS1_S1_S1_S1_PS0_PT_S2_Pfiiii,"axG",@progbits,_Z27kspmm_coo_very_sparse_naiveI6__halfLi32ELi16EEvPiS1_S1_S1_S1_PS0_PT_S2_Pfiiii,comdat
